;; amdgpu-corpus repo=ROCm/rocFFT kind=compiled arch=gfx1030 opt=O3
	.text
	.amdgcn_target "amdgcn-amd-amdhsa--gfx1030"
	.amdhsa_code_object_version 6
	.protected	fft_rtc_back_len1848_factors_3_11_7_4_2_wgs_231_tpt_231_halfLds_half_ip_CI_unitstride_sbrr_R2C_dirReg ; -- Begin function fft_rtc_back_len1848_factors_3_11_7_4_2_wgs_231_tpt_231_halfLds_half_ip_CI_unitstride_sbrr_R2C_dirReg
	.globl	fft_rtc_back_len1848_factors_3_11_7_4_2_wgs_231_tpt_231_halfLds_half_ip_CI_unitstride_sbrr_R2C_dirReg
	.p2align	8
	.type	fft_rtc_back_len1848_factors_3_11_7_4_2_wgs_231_tpt_231_halfLds_half_ip_CI_unitstride_sbrr_R2C_dirReg,@function
fft_rtc_back_len1848_factors_3_11_7_4_2_wgs_231_tpt_231_halfLds_half_ip_CI_unitstride_sbrr_R2C_dirReg: ; @fft_rtc_back_len1848_factors_3_11_7_4_2_wgs_231_tpt_231_halfLds_half_ip_CI_unitstride_sbrr_R2C_dirReg
; %bb.0:
	s_clause 0x2
	s_load_dwordx4 s[8:11], s[4:5], 0x0
	s_load_dwordx2 s[2:3], s[4:5], 0x50
	s_load_dwordx2 s[12:13], s[4:5], 0x18
	v_mul_u32_u24_e32 v1, 0x11c, v0
	v_mov_b32_e32 v3, 0
	v_add_nc_u32_sdwa v5, s6, v1 dst_sel:DWORD dst_unused:UNUSED_PAD src0_sel:DWORD src1_sel:WORD_1
	v_mov_b32_e32 v1, 0
	v_mov_b32_e32 v6, v3
	v_mov_b32_e32 v2, 0
	s_waitcnt lgkmcnt(0)
	v_cmp_lt_u64_e64 s0, s[10:11], 2
	s_and_b32 vcc_lo, exec_lo, s0
	s_cbranch_vccnz .LBB0_8
; %bb.1:
	s_load_dwordx2 s[0:1], s[4:5], 0x10
	v_mov_b32_e32 v1, 0
	s_add_u32 s6, s12, 8
	v_mov_b32_e32 v2, 0
	s_addc_u32 s7, s13, 0
	s_mov_b64 s[16:17], 1
	s_waitcnt lgkmcnt(0)
	s_add_u32 s14, s0, 8
	s_addc_u32 s15, s1, 0
.LBB0_2:                                ; =>This Inner Loop Header: Depth=1
	s_load_dwordx2 s[18:19], s[14:15], 0x0
                                        ; implicit-def: $vgpr7_vgpr8
	s_mov_b32 s0, exec_lo
	s_waitcnt lgkmcnt(0)
	v_or_b32_e32 v4, s19, v6
	v_cmpx_ne_u64_e32 0, v[3:4]
	s_xor_b32 s1, exec_lo, s0
	s_cbranch_execz .LBB0_4
; %bb.3:                                ;   in Loop: Header=BB0_2 Depth=1
	v_cvt_f32_u32_e32 v4, s18
	v_cvt_f32_u32_e32 v7, s19
	s_sub_u32 s0, 0, s18
	s_subb_u32 s20, 0, s19
	v_fmac_f32_e32 v4, 0x4f800000, v7
	v_rcp_f32_e32 v4, v4
	v_mul_f32_e32 v4, 0x5f7ffffc, v4
	v_mul_f32_e32 v7, 0x2f800000, v4
	v_trunc_f32_e32 v7, v7
	v_fmac_f32_e32 v4, 0xcf800000, v7
	v_cvt_u32_f32_e32 v7, v7
	v_cvt_u32_f32_e32 v4, v4
	v_mul_lo_u32 v8, s0, v7
	v_mul_hi_u32 v9, s0, v4
	v_mul_lo_u32 v10, s20, v4
	v_add_nc_u32_e32 v8, v9, v8
	v_mul_lo_u32 v9, s0, v4
	v_add_nc_u32_e32 v8, v8, v10
	v_mul_hi_u32 v10, v4, v9
	v_mul_lo_u32 v11, v4, v8
	v_mul_hi_u32 v12, v4, v8
	v_mul_hi_u32 v13, v7, v9
	v_mul_lo_u32 v9, v7, v9
	v_mul_hi_u32 v14, v7, v8
	v_mul_lo_u32 v8, v7, v8
	v_add_co_u32 v10, vcc_lo, v10, v11
	v_add_co_ci_u32_e32 v11, vcc_lo, 0, v12, vcc_lo
	v_add_co_u32 v9, vcc_lo, v10, v9
	v_add_co_ci_u32_e32 v9, vcc_lo, v11, v13, vcc_lo
	v_add_co_ci_u32_e32 v10, vcc_lo, 0, v14, vcc_lo
	v_add_co_u32 v8, vcc_lo, v9, v8
	v_add_co_ci_u32_e32 v9, vcc_lo, 0, v10, vcc_lo
	v_add_co_u32 v4, vcc_lo, v4, v8
	v_add_co_ci_u32_e32 v7, vcc_lo, v7, v9, vcc_lo
	v_mul_hi_u32 v8, s0, v4
	v_mul_lo_u32 v10, s20, v4
	v_mul_lo_u32 v9, s0, v7
	v_add_nc_u32_e32 v8, v8, v9
	v_mul_lo_u32 v9, s0, v4
	v_add_nc_u32_e32 v8, v8, v10
	v_mul_hi_u32 v10, v4, v9
	v_mul_lo_u32 v11, v4, v8
	v_mul_hi_u32 v12, v4, v8
	v_mul_hi_u32 v13, v7, v9
	v_mul_lo_u32 v9, v7, v9
	v_mul_hi_u32 v14, v7, v8
	v_mul_lo_u32 v8, v7, v8
	v_add_co_u32 v10, vcc_lo, v10, v11
	v_add_co_ci_u32_e32 v11, vcc_lo, 0, v12, vcc_lo
	v_add_co_u32 v9, vcc_lo, v10, v9
	v_add_co_ci_u32_e32 v9, vcc_lo, v11, v13, vcc_lo
	v_add_co_ci_u32_e32 v10, vcc_lo, 0, v14, vcc_lo
	v_add_co_u32 v8, vcc_lo, v9, v8
	v_add_co_ci_u32_e32 v9, vcc_lo, 0, v10, vcc_lo
	v_add_co_u32 v4, vcc_lo, v4, v8
	v_add_co_ci_u32_e32 v11, vcc_lo, v7, v9, vcc_lo
	v_mul_hi_u32 v13, v5, v4
	v_mad_u64_u32 v[9:10], null, v6, v4, 0
	v_mad_u64_u32 v[7:8], null, v5, v11, 0
	;; [unrolled: 1-line block ×3, first 2 shown]
	v_add_co_u32 v4, vcc_lo, v13, v7
	v_add_co_ci_u32_e32 v7, vcc_lo, 0, v8, vcc_lo
	v_add_co_u32 v4, vcc_lo, v4, v9
	v_add_co_ci_u32_e32 v4, vcc_lo, v7, v10, vcc_lo
	v_add_co_ci_u32_e32 v7, vcc_lo, 0, v12, vcc_lo
	v_add_co_u32 v4, vcc_lo, v4, v11
	v_add_co_ci_u32_e32 v9, vcc_lo, 0, v7, vcc_lo
	v_mul_lo_u32 v10, s19, v4
	v_mad_u64_u32 v[7:8], null, s18, v4, 0
	v_mul_lo_u32 v11, s18, v9
	v_sub_co_u32 v7, vcc_lo, v5, v7
	v_add3_u32 v8, v8, v11, v10
	v_sub_nc_u32_e32 v10, v6, v8
	v_subrev_co_ci_u32_e64 v10, s0, s19, v10, vcc_lo
	v_add_co_u32 v11, s0, v4, 2
	v_add_co_ci_u32_e64 v12, s0, 0, v9, s0
	v_sub_co_u32 v13, s0, v7, s18
	v_sub_co_ci_u32_e32 v8, vcc_lo, v6, v8, vcc_lo
	v_subrev_co_ci_u32_e64 v10, s0, 0, v10, s0
	v_cmp_le_u32_e32 vcc_lo, s18, v13
	v_cmp_eq_u32_e64 s0, s19, v8
	v_cndmask_b32_e64 v13, 0, -1, vcc_lo
	v_cmp_le_u32_e32 vcc_lo, s19, v10
	v_cndmask_b32_e64 v14, 0, -1, vcc_lo
	v_cmp_le_u32_e32 vcc_lo, s18, v7
	;; [unrolled: 2-line block ×3, first 2 shown]
	v_cndmask_b32_e64 v15, 0, -1, vcc_lo
	v_cmp_eq_u32_e32 vcc_lo, s19, v10
	v_cndmask_b32_e64 v7, v15, v7, s0
	v_cndmask_b32_e32 v10, v14, v13, vcc_lo
	v_add_co_u32 v13, vcc_lo, v4, 1
	v_add_co_ci_u32_e32 v14, vcc_lo, 0, v9, vcc_lo
	v_cmp_ne_u32_e32 vcc_lo, 0, v10
	v_cndmask_b32_e32 v8, v14, v12, vcc_lo
	v_cndmask_b32_e32 v10, v13, v11, vcc_lo
	v_cmp_ne_u32_e32 vcc_lo, 0, v7
	v_cndmask_b32_e32 v8, v9, v8, vcc_lo
	v_cndmask_b32_e32 v7, v4, v10, vcc_lo
.LBB0_4:                                ;   in Loop: Header=BB0_2 Depth=1
	s_andn2_saveexec_b32 s0, s1
	s_cbranch_execz .LBB0_6
; %bb.5:                                ;   in Loop: Header=BB0_2 Depth=1
	v_cvt_f32_u32_e32 v4, s18
	s_sub_i32 s1, 0, s18
	v_rcp_iflag_f32_e32 v4, v4
	v_mul_f32_e32 v4, 0x4f7ffffe, v4
	v_cvt_u32_f32_e32 v4, v4
	v_mul_lo_u32 v7, s1, v4
	v_mul_hi_u32 v7, v4, v7
	v_add_nc_u32_e32 v4, v4, v7
	v_mul_hi_u32 v4, v5, v4
	v_mul_lo_u32 v7, v4, s18
	v_add_nc_u32_e32 v8, 1, v4
	v_sub_nc_u32_e32 v7, v5, v7
	v_subrev_nc_u32_e32 v9, s18, v7
	v_cmp_le_u32_e32 vcc_lo, s18, v7
	v_cndmask_b32_e32 v7, v7, v9, vcc_lo
	v_cndmask_b32_e32 v4, v4, v8, vcc_lo
	v_cmp_le_u32_e32 vcc_lo, s18, v7
	v_add_nc_u32_e32 v8, 1, v4
	v_cndmask_b32_e32 v7, v4, v8, vcc_lo
	v_mov_b32_e32 v8, v3
.LBB0_6:                                ;   in Loop: Header=BB0_2 Depth=1
	s_or_b32 exec_lo, exec_lo, s0
	s_load_dwordx2 s[0:1], s[6:7], 0x0
	v_mul_lo_u32 v4, v8, s18
	v_mul_lo_u32 v11, v7, s19
	v_mad_u64_u32 v[9:10], null, v7, s18, 0
	s_add_u32 s16, s16, 1
	s_addc_u32 s17, s17, 0
	s_add_u32 s6, s6, 8
	s_addc_u32 s7, s7, 0
	;; [unrolled: 2-line block ×3, first 2 shown]
	v_add3_u32 v4, v10, v11, v4
	v_sub_co_u32 v5, vcc_lo, v5, v9
	v_sub_co_ci_u32_e32 v4, vcc_lo, v6, v4, vcc_lo
	s_waitcnt lgkmcnt(0)
	v_mul_lo_u32 v6, s1, v5
	v_mul_lo_u32 v4, s0, v4
	v_mad_u64_u32 v[1:2], null, s0, v5, v[1:2]
	v_cmp_ge_u64_e64 s0, s[16:17], s[10:11]
	s_and_b32 vcc_lo, exec_lo, s0
	v_add3_u32 v2, v6, v2, v4
	s_cbranch_vccnz .LBB0_9
; %bb.7:                                ;   in Loop: Header=BB0_2 Depth=1
	v_mov_b32_e32 v5, v7
	v_mov_b32_e32 v6, v8
	s_branch .LBB0_2
.LBB0_8:
	v_mov_b32_e32 v8, v6
	v_mov_b32_e32 v7, v5
.LBB0_9:
	s_lshl_b64 s[0:1], s[10:11], 3
	v_mul_hi_u32 v3, 0x11bb4a5, v0
	s_add_u32 s0, s12, s0
	s_addc_u32 s1, s13, s1
	s_load_dwordx2 s[0:1], s[0:1], 0x0
	s_load_dwordx2 s[4:5], s[4:5], 0x20
	v_mul_u32_u24_e32 v3, 0xe7, v3
	v_sub_nc_u32_e32 v0, v0, v3
	v_add_nc_u32_e32 v4, 0xe7, v0
	s_waitcnt lgkmcnt(0)
	v_mul_lo_u32 v5, s0, v8
	v_mul_lo_u32 v6, s1, v7
	v_mad_u64_u32 v[1:2], null, s0, v7, v[1:2]
	v_cmp_gt_u64_e32 vcc_lo, s[4:5], v[7:8]
	v_cmp_le_u64_e64 s0, s[4:5], v[7:8]
	v_add3_u32 v2, v6, v2, v5
	v_add_nc_u32_e32 v6, 0x1ce, v0
	s_and_saveexec_b32 s1, s0
	s_xor_b32 s0, exec_lo, s1
; %bb.10:
	v_add_nc_u32_e32 v4, 0xe7, v0
	v_add_nc_u32_e32 v6, 0x1ce, v0
; %bb.11:
	s_or_saveexec_b32 s1, s0
	v_lshlrev_b64 v[2:3], 2, v[1:2]
	v_lshl_add_u32 v17, v0, 2, 0
	s_xor_b32 exec_lo, exec_lo, s1
	s_cbranch_execz .LBB0_13
; %bb.12:
	v_mov_b32_e32 v1, 0
	v_add_nc_u32_e32 v15, 0x1580, v17
	v_lshlrev_b64 v[7:8], 2, v[0:1]
	v_add_co_u32 v1, s0, s2, v2
	v_add_co_ci_u32_e64 v5, s0, s3, v3, s0
	v_add_co_u32 v7, s0, v1, v7
	v_add_co_ci_u32_e64 v8, s0, v5, v8, s0
	;; [unrolled: 2-line block ×5, first 2 shown]
	s_clause 0x7
	global_load_dword v1, v[7:8], off
	global_load_dword v5, v[7:8], off offset:924
	global_load_dword v7, v[7:8], off offset:1848
	;; [unrolled: 1-line block ×7, first 2 shown]
	v_add_nc_u32_e32 v13, 0x700, v17
	v_add_nc_u32_e32 v14, 0xe40, v17
	s_waitcnt vmcnt(6)
	ds_write2_b32 v17, v1, v5 offset1:231
	s_waitcnt vmcnt(4)
	ds_write2_b32 v13, v7, v8 offset0:14 offset1:245
	s_waitcnt vmcnt(2)
	ds_write2_b32 v14, v9, v10 offset0:12 offset1:243
	;; [unrolled: 2-line block ×3, first 2 shown]
.LBB0_13:
	s_or_b32 exec_lo, exec_lo, s1
	v_add_nc_u32_e32 v1, 0x600, v17
	v_add_nc_u32_e32 v5, 0xd00, v17
	s_waitcnt lgkmcnt(0)
	s_barrier
	buffer_gl0_inv
	ds_read2_b32 v[10:11], v17 offset1:231
	ds_read2_b32 v[8:9], v1 offset0:78 offset1:232
	v_add_nc_u32_e32 v1, 0x1300, v17
	ds_read2_b32 v[12:13], v5 offset0:15 offset1:246
	ds_read_b32 v5, v17 offset:6776
	ds_read2_b32 v[14:15], v1 offset0:16 offset1:247
	v_lshl_add_u32 v18, v0, 3, v17
	v_mad_i32_i24 v19, v4, 12, 0
	s_mov_b32 s1, exec_lo
	s_waitcnt lgkmcnt(0)
	s_barrier
	buffer_gl0_inv
	v_pk_add_f16 v1, v10, v9
	v_pk_add_f16 v16, v8, v13
	v_pk_add_f16 v20, v13, v5
	v_pk_add_f16 v13, v13, v5 neg_lo:[0,1] neg_hi:[0,1]
	v_pk_add_f16 v22, v9, v14
	v_pk_add_f16 v23, v9, v14 neg_lo:[0,1] neg_hi:[0,1]
	v_pk_add_f16 v21, v11, v12
	v_pk_add_f16 v24, v12, v15
	v_pk_add_f16 v12, v12, v15 neg_lo:[0,1] neg_hi:[0,1]
	v_pk_add_f16 v7, v1, v14
	v_pk_add_f16 v9, v16, v5
	v_pk_fma_f16 v1, v20, 0.5, v8 op_sel_hi:[1,0,1] neg_lo:[1,0,0] neg_hi:[1,0,0]
	v_pk_mul_f16 v5, 0x3aee, v13 op_sel_hi:[0,1]
	v_pk_fma_f16 v8, v22, 0.5, v10 op_sel_hi:[1,0,1] neg_lo:[1,0,0] neg_hi:[1,0,0]
	v_pk_mul_f16 v16, 0x3aee, v23 op_sel_hi:[0,1]
	;; [unrolled: 2-line block ×3, first 2 shown]
	v_pk_add_f16 v10, v1, v5 op_sel:[0,1] op_sel_hi:[1,0] neg_lo:[0,1] neg_hi:[0,1]
	v_pk_add_f16 v14, v21, v15
	v_pk_add_f16 v13, v8, v16 op_sel:[0,1] op_sel_hi:[1,0]
	v_pk_add_f16 v8, v8, v16 op_sel:[0,1] op_sel_hi:[1,0] neg_lo:[0,1] neg_hi:[0,1]
	v_pk_add_f16 v16, v11, v12 op_sel:[0,1] op_sel_hi:[1,0]
	v_pk_add_f16 v15, v11, v12 op_sel:[0,1] op_sel_hi:[1,0] neg_lo:[0,1] neg_hi:[0,1]
	v_pk_add_f16 v11, v1, v5 op_sel:[0,1] op_sel_hi:[1,0]
	v_lshrrev_b32_e32 v1, 16, v10
	v_bfi_b32 v5, 0xffff, v8, v13
	v_bfi_b32 v12, 0xffff, v13, v8
	;; [unrolled: 1-line block ×4, first 2 shown]
	ds_write2_b32 v18, v7, v5 offset1:1
	ds_write_b32 v18, v12 offset:8
	ds_write2_b32 v19, v14, v20 offset1:1
	ds_write_b32 v19, v21 offset:8
	v_cmpx_gt_u32_e32 0x9a, v0
	s_cbranch_execz .LBB0_15
; %bb.14:
	v_bfi_b32 v5, 0xffff, v10, v11
	v_mad_i32_i24 v12, v6, 12, 0
	v_perm_b32 v18, v1, v11, 0x5040100
	ds_write2_b32 v12, v9, v5 offset1:1
	ds_write_b32 v12, v18 offset:8
.LBB0_15:
	s_or_b32 exec_lo, exec_lo, s1
	v_lshrrev_b32_e32 v30, 16, v8
	v_lshrrev_b32_e32 v31, 16, v15
	v_cmp_gt_u32_e64 s0, 0xa8, v0
	v_lshrrev_b32_e32 v40, 16, v9
	v_lshrrev_b32_e32 v41, 16, v11
	;; [unrolled: 1-line block ×5, first 2 shown]
	s_waitcnt lgkmcnt(0)
	s_barrier
	buffer_gl0_inv
                                        ; implicit-def: $vgpr38
                                        ; implicit-def: $vgpr39
                                        ; implicit-def: $vgpr5
	s_and_saveexec_b32 s1, s0
	s_cbranch_execz .LBB0_17
; %bb.16:
	v_add_nc_u32_e32 v1, 0x1400, v17
	v_add_nc_u32_e32 v9, 0x400, v17
	;; [unrolled: 1-line block ×3, first 2 shown]
	ds_read2_b32 v[7:8], v17 offset1:168
	ds_read_b32 v5, v17 offset:6720
	ds_read2_b32 v[11:12], v1 offset0:64 offset1:232
	v_add_nc_u32_e32 v1, 0xf00, v17
	ds_read2_b32 v[13:14], v9 offset0:80 offset1:248
	ds_read2_b32 v[15:16], v10 offset0:32 offset1:200
	;; [unrolled: 1-line block ×3, first 2 shown]
	s_waitcnt lgkmcnt(5)
	v_lshrrev_b32_e32 v34, 16, v8
	s_waitcnt lgkmcnt(4)
	v_lshrrev_b32_e32 v39, 16, v5
	;; [unrolled: 2-line block ×3, first 2 shown]
	v_lshrrev_b32_e32 v38, 16, v12
	s_waitcnt lgkmcnt(2)
	v_lshrrev_b32_e32 v30, 16, v13
	v_lshrrev_b32_e32 v33, 16, v14
	s_waitcnt lgkmcnt(1)
	v_lshrrev_b32_e32 v42, 16, v15
	;; [unrolled: 3-line block ×3, first 2 shown]
	v_lshrrev_b32_e32 v41, 16, v10
.LBB0_17:
	s_or_b32 exec_lo, exec_lo, s1
	v_and_b32_e32 v18, 0xff, v0
	v_mov_b32_e32 v21, 10
	v_mul_lo_u16 v19, 0xab, v18
	v_lshrrev_b16 v19, 9, v19
	v_mul_lo_u16 v20, v19, 3
	v_sub_nc_u16 v20, v0, v20
	v_mul_u32_u24_sdwa v21, v20, v21 dst_sel:DWORD dst_unused:UNUSED_PAD src0_sel:BYTE_0 src1_sel:DWORD
	v_lshlrev_b32_e32 v21, 2, v21
	s_clause 0x2
	global_load_dwordx4 v[43:46], v21, s[8:9]
	global_load_dwordx4 v[47:50], v21, s[8:9] offset:16
	global_load_dwordx2 v[51:52], v21, s[8:9] offset:32
	s_waitcnt vmcnt(0)
	s_barrier
	buffer_gl0_inv
	v_mul_f16_sdwa v35, v8, v43 dst_sel:DWORD dst_unused:UNUSED_PAD src0_sel:DWORD src1_sel:WORD_1
	v_mul_f16_sdwa v27, v42, v46 dst_sel:DWORD dst_unused:UNUSED_PAD src0_sel:DWORD src1_sel:WORD_1
	;; [unrolled: 1-line block ×9, first 2 shown]
	v_fma_f16 v37, v34, v43, -v35
	v_fmac_f16_e32 v27, v15, v46
	v_fma_f16 v15, v39, v52, -v60
	v_mul_f16_sdwa v29, v30, v44 dst_sel:DWORD dst_unused:UNUSED_PAD src0_sel:DWORD src1_sel:WORD_1
	v_mul_f16_sdwa v53, v14, v45 dst_sel:DWORD dst_unused:UNUSED_PAD src0_sel:DWORD src1_sel:WORD_1
	;; [unrolled: 1-line block ×6, first 2 shown]
	v_fmac_f16_e32 v32, v8, v43
	v_fma_f16 v36, v30, v44, -v36
	v_fmac_f16_e32 v21, v5, v52
	v_fmac_f16_e32 v22, v12, v51
	v_fma_f16 v12, v38, v51, -v59
	v_add_f16_e32 v61, v37, v15
	v_sub_f16_e32 v81, v37, v15
	v_mul_f16_sdwa v28, v33, v45 dst_sel:DWORD dst_unused:UNUSED_PAD src0_sel:DWORD src1_sel:WORD_1
	v_mul_f16_sdwa v25, v40, v48 dst_sel:DWORD dst_unused:UNUSED_PAD src0_sel:DWORD src1_sel:WORD_1
	;; [unrolled: 1-line block ×5, first 2 shown]
	v_fmac_f16_e32 v29, v13, v44
	v_fma_f16 v35, v33, v45, -v53
	v_fma_f16 v34, v42, v46, -v54
	v_fmac_f16_e32 v26, v16, v47
	v_fma_f16 v33, v31, v47, -v55
	v_fma_f16 v31, v40, v48, -v56
	;; [unrolled: 1-line block ×3, first 2 shown]
	v_add_f16_e32 v53, v32, v21
	v_sub_f16_e32 v54, v32, v21
	v_add_f16_e32 v73, v36, v12
	v_sub_f16_e32 v86, v36, v12
	v_mul_f16_e32 v40, 0xb853, v81
	v_mul_f16_e32 v44, 0x3abb, v61
	;; [unrolled: 1-line block ×8, first 2 shown]
	v_fmac_f16_e32 v28, v14, v45
	v_fmac_f16_e32 v25, v9, v48
	;; [unrolled: 1-line block ×3, first 2 shown]
	v_fma_f16 v30, v41, v49, -v57
	v_fmac_f16_e32 v23, v11, v50
	v_add_f16_e32 v50, v29, v22
	v_sub_f16_e32 v52, v29, v22
	v_sub_f16_e32 v95, v35, v16
	v_add_f16_e32 v87, v35, v16
	v_mul_f16_e32 v41, 0xbb47, v86
	v_mul_f16_e32 v45, 0x36a6, v73
	;; [unrolled: 1-line block ×8, first 2 shown]
	v_fma_f16 v1, v53, 0x3abb, -v40
	v_fmamk_f16 v5, v54, 0xb853, v44
	v_fma_f16 v8, v53, 0x36a6, -v56
	v_fmamk_f16 v9, v54, 0xbb47, v63
	v_fma_f16 v10, v53, 0xb08e, -v71
	v_fmamk_f16 v11, v54, 0xbbeb, v79
	v_fma_f16 v14, v53, 0xb93d, -v85
	v_fmamk_f16 v104, v54, 0xba0c, v92
	v_add_f16_e32 v58, v28, v23
	v_sub_f16_e32 v60, v28, v23
	v_sub_f16_e32 v96, v34, v30
	v_add_f16_e32 v91, v34, v30
	v_mul_f16_e32 v42, 0xbbeb, v95
	v_mul_f16_e32 v46, 0xb08e, v87
	;; [unrolled: 1-line block ×8, first 2 shown]
	v_fma_f16 v13, v50, 0x36a6, -v41
	v_fmamk_f16 v98, v52, 0xbb47, v45
	v_fma_f16 v99, v50, 0xb93d, -v57
	v_fmamk_f16 v100, v52, 0xba0c, v65
	;; [unrolled: 2-line block ×4, first 2 shown]
	v_add_f16_e32 v1, v7, v1
	v_add_f16_sdwa v5, v7, v5 dst_sel:DWORD dst_unused:UNUSED_PAD src0_sel:WORD_1 src1_sel:DWORD
	v_add_f16_e32 v8, v7, v8
	v_add_f16_sdwa v9, v7, v9 dst_sel:DWORD dst_unused:UNUSED_PAD src0_sel:WORD_1 src1_sel:DWORD
	;; [unrolled: 2-line block ×4, first 2 shown]
	v_add_f16_e32 v59, v27, v24
	v_sub_f16_e32 v62, v27, v24
	v_sub_f16_e32 v97, v33, v31
	v_add_f16_e32 v94, v33, v31
	v_mul_f16_e32 v43, 0xba0c, v96
	v_mul_f16_e32 v47, 0xb93d, v91
	v_mul_f16_e32 v49, 0x3beb, v96
	v_mul_f16_e32 v64, 0xb08e, v91
	v_mul_f16_e32 v67, 0xb853, v96
	v_mul_f16_e32 v75, 0x3abb, v91
	v_mul_f16_e32 v80, 0xb482, v96
	v_mul_f16_e32 v88, 0xbbad, v91
	v_fma_f16 v106, v58, 0xb08e, -v42
	v_fmamk_f16 v107, v60, 0xbbeb, v46
	v_fma_f16 v108, v58, 0xbbad, -v51
	v_fmamk_f16 v109, v60, 0x3482, v66
	v_fma_f16 v110, v58, 0x36a6, -v69
	v_add_f16_e32 v1, v13, v1
	v_fmamk_f16 v13, v60, 0x3b47, v76
	v_add_f16_e32 v5, v98, v5
	v_fma_f16 v98, v58, 0x3abb, -v83
	v_add_f16_e32 v8, v99, v8
	v_fmamk_f16 v99, v60, 0xb853, v90
	v_add_f16_e32 v9, v100, v9
	v_add_f16_e32 v10, v101, v10
	;; [unrolled: 1-line block ×6, first 2 shown]
	v_sub_f16_e32 v74, v26, v25
	v_mul_f16_e32 v39, 0xb482, v97
	v_mul_f16_e32 v48, 0xbbad, v94
	;; [unrolled: 1-line block ×8, first 2 shown]
	v_fma_f16 v100, v59, 0xb93d, -v43
	v_fmamk_f16 v101, v62, 0xba0c, v47
	v_fma_f16 v102, v59, 0xb08e, -v49
	v_fmamk_f16 v103, v62, 0x3beb, v64
	v_fma_f16 v105, v59, 0x3abb, -v67
	v_add_f16_e32 v1, v106, v1
	v_fmamk_f16 v106, v62, 0xb853, v75
	v_add_f16_e32 v5, v107, v5
	v_fma_f16 v107, v59, 0xbbad, -v80
	v_add_f16_e32 v8, v108, v8
	v_fmamk_f16 v108, v62, 0xb482, v88
	v_add_f16_e32 v9, v109, v9
	v_add_f16_e32 v10, v110, v10
	;; [unrolled: 1-line block ×5, first 2 shown]
	v_fma_f16 v109, v70, 0xbbad, -v39
	v_fmamk_f16 v110, v74, 0xb482, v48
	v_fma_f16 v13, v70, 0x3abb, -v38
	v_fmamk_f16 v98, v74, 0x3853, v55
	v_fma_f16 v104, v70, 0xb93d, -v72
	v_add_f16_e32 v1, v100, v1
	v_fmamk_f16 v100, v74, 0xba0c, v77
	v_add_f16_e32 v5, v101, v5
	v_fma_f16 v101, v70, 0x36a6, -v82
	v_add_f16_e32 v102, v102, v8
	v_fmamk_f16 v111, v74, 0x3b47, v89
	v_add_f16_e32 v9, v103, v9
	v_add_f16_e32 v103, v105, v10
	;; [unrolled: 1-line block ×13, first 2 shown]
	s_and_saveexec_b32 s1, s0
	s_cbranch_execz .LBB0_19
; %bb.18:
	v_mul_f16_e32 v98, 0xb482, v54
	v_mul_f16_e32 v99, 0x3853, v52
	;; [unrolled: 1-line block ×5, first 2 shown]
	v_fmamk_f16 v102, v61, 0xbbad, v98
	v_fmamk_f16 v105, v73, 0x3abb, v99
	v_fma_f16 v107, v53, 0xbbad, -v81
	v_fma_f16 v61, v61, 0xbbad, -v98
	v_mul_f16_e32 v101, 0xba0c, v60
	v_add_f16_sdwa v102, v7, v102 dst_sel:DWORD dst_unused:UNUSED_PAD src0_sel:WORD_1 src1_sel:DWORD
	v_mul_f16_e32 v96, 0x3b47, v96
	v_add_f16_e32 v107, v7, v107
	v_fma_f16 v98, v58, 0xb93d, -v95
	v_fma_f16 v73, v73, 0x3abb, -v99
	v_add_f16_e32 v102, v105, v102
	v_fma_f16 v105, v50, 0x3abb, -v86
	v_add_f16_sdwa v61, v7, v61 dst_sel:DWORD dst_unused:UNUSED_PAD src0_sel:WORD_1 src1_sel:DWORD
	v_fmac_f16_e32 v81, 0xbbad, v53
	v_mul_f16_e32 v103, 0x3b47, v62
	v_fmamk_f16 v108, v87, 0xb93d, v101
	v_add_f16_e32 v105, v105, v107
	v_add_f16_e32 v61, v73, v61
	v_fma_f16 v87, v87, 0xb93d, -v101
	v_mul_f16_e32 v97, 0xbbeb, v97
	v_fmac_f16_e32 v86, 0x3abb, v50
	v_add_f16_e32 v98, v98, v105
	v_fma_f16 v105, v59, 0x36a6, -v96
	v_add_f16_e32 v81, v7, v81
	v_mul_f16_e32 v106, 0xb853, v54
	v_fmamk_f16 v109, v91, 0x36a6, v103
	v_mul_f16_e32 v73, 0xbb47, v54
	v_add_f16_e32 v98, v105, v98
	v_mul_f16_e32 v105, 0xbbeb, v54
	v_mul_f16_e32 v54, 0xba0c, v54
	v_add_f16_e32 v61, v87, v61
	v_fma_f16 v87, v70, 0xb08e, -v97
	v_fma_f16 v91, v91, 0x36a6, -v103
	v_add_f16_e32 v81, v86, v81
	v_fmac_f16_e32 v95, 0xb93d, v58
	v_sub_f16_e32 v54, v92, v54
	v_add_f16_e32 v87, v87, v98
	v_mul_f16_e32 v98, 0xbb47, v52
	v_add_f16_e32 v61, v91, v61
	v_mul_f16_e32 v91, 0xba0c, v52
	;; [unrolled: 2-line block ×3, first 2 shown]
	v_mul_f16_e32 v52, 0x3beb, v52
	v_mul_f16_e32 v100, 0x3abb, v53
	;; [unrolled: 1-line block ×6, first 2 shown]
	v_sub_f16_e32 v52, v93, v52
	v_add_f16_sdwa v54, v7, v54 dst_sel:DWORD dst_unused:UNUSED_PAD src0_sel:WORD_1 src1_sel:DWORD
	v_add_f16_e32 v102, v108, v102
	v_fmamk_f16 v108, v94, 0xb08e, v104
	v_mul_f16_e32 v103, 0x36a6, v50
	v_mul_f16_e32 v86, 0xb93d, v50
	v_fma_f16 v94, v94, 0xb08e, -v104
	v_mul_f16_e32 v104, 0xbbad, v50
	v_mul_f16_e32 v50, 0xb08e, v50
	v_add_f16_e32 v52, v52, v54
	v_mul_f16_e32 v54, 0xb853, v60
	v_add_f16_e32 v53, v53, v85
	;; [unrolled: 2-line block ×3, first 2 shown]
	v_mul_f16_e32 v94, 0xbbad, v58
	v_mul_f16_e32 v85, 0x36a6, v58
	;; [unrolled: 1-line block ×3, first 2 shown]
	v_sub_f16_e32 v54, v90, v54
	v_mul_f16_e32 v90, 0xb482, v62
	v_add_f16_e32 v50, v50, v84
	v_add_f16_e32 v53, v7, v53
	;; [unrolled: 1-line block ×3, first 2 shown]
	v_add_f16_sdwa v37, v7, v37 dst_sel:DWORD dst_unused:UNUSED_PAD src0_sel:WORD_1 src1_sel:DWORD
	v_fmac_f16_e32 v96, 0x36a6, v59
	v_mul_f16_e32 v84, 0xb93d, v59
	v_sub_f16_e32 v88, v88, v90
	v_mul_f16_e32 v90, 0xb08e, v59
	v_add_f16_e32 v50, v50, v53
	v_sub_f16_e32 v79, v79, v105
	v_mul_f16_e32 v105, 0x3abb, v59
	v_add_f16_e32 v58, v58, v83
	v_mul_f16_e32 v59, 0xbbad, v59
	v_sub_f16_e32 v44, v44, v106
	v_add_f16_e32 v29, v32, v29
	v_add_f16_e32 v36, v37, v36
	v_mul_f16_e32 v93, 0xbbeb, v60
	v_add_f16_e32 v50, v58, v50
	v_add_f16_e32 v59, v59, v80
	v_add_f16_sdwa v37, v7, v44 dst_sel:DWORD dst_unused:UNUSED_PAD src0_sel:WORD_1 src1_sel:DWORD
	v_add_f16_e32 v28, v29, v28
	v_sub_f16_e32 v29, v45, v98
	v_add_f16_e32 v35, v36, v35
	v_add_f16_e32 v50, v59, v50
	;; [unrolled: 1-line block ×3, first 2 shown]
	v_sub_f16_e32 v63, v63, v73
	v_add_f16_e32 v56, v99, v56
	v_add_f16_e32 v36, v100, v40
	;; [unrolled: 1-line block ×4, first 2 shown]
	v_sub_f16_e32 v29, v46, v93
	v_add_f16_e32 v34, v35, v34
	v_add_f16_e32 v81, v96, v81
	v_mul_f16_e32 v96, 0x3482, v60
	v_mul_f16_e32 v60, 0x3b47, v60
	v_sub_f16_e32 v78, v78, v95
	v_add_f16_sdwa v79, v7, v79 dst_sel:DWORD dst_unused:UNUSED_PAD src0_sel:WORD_1 src1_sel:DWORD
	v_add_f16_e32 v59, v7, v59
	v_add_f16_sdwa v63, v7, v63 dst_sel:DWORD dst_unused:UNUSED_PAD src0_sel:WORD_1 src1_sel:DWORD
	v_add_f16_e32 v56, v7, v56
	v_add_f16_e32 v7, v7, v36
	;; [unrolled: 1-line block ×7, first 2 shown]
	v_mul_f16_e32 v54, 0xba0c, v62
	v_mul_f16_e32 v53, 0x3beb, v62
	;; [unrolled: 1-line block ×4, first 2 shown]
	v_add_f16_e32 v78, v78, v79
	v_sub_f16_e32 v60, v76, v60
	v_add_f16_e32 v25, v26, v25
	v_add_f16_e32 v7, v27, v7
	;; [unrolled: 1-line block ×4, first 2 shown]
	v_sub_f16_e32 v83, v89, v83
	v_mul_f16_e32 v89, 0xb482, v74
	v_mul_f16_e32 v58, 0x3853, v74
	;; [unrolled: 1-line block ×3, first 2 shown]
	v_add_f16_e32 v60, v60, v78
	v_sub_f16_e32 v62, v75, v62
	v_add_f16_e32 v68, v104, v68
	v_sub_f16_e32 v65, v65, v91
	v_add_f16_e32 v57, v86, v57
	v_add_f16_e32 v24, v25, v24
	;; [unrolled: 1-line block ×5, first 2 shown]
	v_mul_f16_e32 v88, 0xbbad, v70
	v_add_f16_e32 v60, v62, v60
	v_sub_f16_e32 v62, v77, v74
	v_add_f16_e32 v59, v68, v59
	v_add_f16_e32 v68, v85, v69
	;; [unrolled: 1-line block ×3, first 2 shown]
	v_sub_f16_e32 v65, v66, v96
	v_add_f16_e32 v56, v57, v56
	v_add_f16_e32 v51, v94, v51
	v_sub_f16_e32 v33, v47, v54
	v_add_f16_e32 v27, v84, v43
	v_add_f16_e32 v23, v24, v23
	;; [unrolled: 1-line block ×3, first 2 shown]
	v_mul_f16_e32 v95, 0x3abb, v70
	v_mul_f16_e32 v80, 0xb93d, v70
	v_add_f16_e32 v60, v62, v60
	v_add_f16_e32 v59, v68, v59
	;; [unrolled: 1-line block ×4, first 2 shown]
	v_sub_f16_e32 v53, v64, v53
	v_add_f16_e32 v51, v51, v56
	v_add_f16_e32 v44, v90, v49
	;; [unrolled: 1-line block ×3, first 2 shown]
	v_sub_f16_e32 v25, v48, v89
	v_add_f16_e32 v7, v27, v7
	v_add_f16_e32 v22, v23, v22
	v_mov_b32_e32 v23, 0x84
	v_mov_b32_e32 v26, 2
	v_add_f16_e32 v12, v16, v12
	v_add_f16_e32 v16, v88, v39
	v_fmac_f16_e32 v97, 0xb08e, v70
	v_mul_f16_e32 v70, 0x36a6, v70
	v_add_f16_e32 v59, v62, v59
	v_add_f16_e32 v62, v80, v72
	;; [unrolled: 1-line block ×3, first 2 shown]
	v_sub_f16_e32 v32, v55, v58
	v_add_f16_e32 v24, v44, v51
	v_add_f16_e32 v25, v25, v28
	;; [unrolled: 1-line block ×3, first 2 shown]
	v_mul_u32_u24_sdwa v19, v19, v23 dst_sel:DWORD dst_unused:UNUSED_PAD src0_sel:WORD_0 src1_sel:DWORD
	v_lshlrev_b32_sdwa v20, v26, v20 dst_sel:DWORD dst_unused:UNUSED_PAD src0_sel:DWORD src1_sel:BYTE_0
	v_add_f16_e32 v12, v12, v15
	v_add_f16_e32 v7, v16, v7
	v_add_f16_e32 v15, v95, v38
	v_add_f16_e32 v70, v70, v82
	v_add_f16_e32 v102, v109, v102
	v_add_f16_e32 v16, v32, v53
	v_add3_u32 v19, 0, v19, v20
	v_pack_b32_f16 v12, v21, v12
	v_pack_b32_f16 v7, v7, v25
	v_add_f16_e32 v15, v15, v24
	v_add_f16_e32 v20, v62, v59
	;; [unrolled: 1-line block ×6, first 2 shown]
	ds_write2_b32 v19, v12, v7 offset1:3
	v_pack_b32_f16 v7, v15, v16
	v_pack_b32_f16 v12, v20, v60
	;; [unrolled: 1-line block ×5, first 2 shown]
	v_perm_b32 v21, v5, v1, 0x5040100
	v_perm_b32 v22, v14, v13, 0x5040100
	;; [unrolled: 1-line block ×4, first 2 shown]
	ds_write2_b32 v19, v7, v12 offset0:6 offset1:9
	ds_write2_b32 v19, v15, v16 offset0:12 offset1:15
	;; [unrolled: 1-line block ×4, first 2 shown]
	ds_write_b32 v19, v24 offset:120
.LBB0_19:
	s_or_b32 exec_lo, exec_lo, s1
	s_waitcnt lgkmcnt(0)
	s_barrier
	buffer_gl0_inv
	ds_read_b32 v22, v17
	ds_read_b32 v28, v17 offset:1056
	ds_read_b32 v27, v17 offset:2112
	;; [unrolled: 1-line block ×6, first 2 shown]
	v_cmp_gt_u32_e64 s0, 33, v0
	v_lshl_add_u32 v12, v4, 2, 0
                                        ; implicit-def: $vgpr16
                                        ; implicit-def: $vgpr7
                                        ; implicit-def: $vgpr21
                                        ; implicit-def: $vgpr20
                                        ; implicit-def: $vgpr19
                                        ; implicit-def: $vgpr15
	s_and_saveexec_b32 s1, s0
	s_cbranch_execz .LBB0_21
; %bb.20:
	ds_read_b32 v1, v12
	ds_read_b32 v8, v17 offset:4092
	ds_read_b32 v7, v17 offset:5148
	;; [unrolled: 1-line block ×5, first 2 shown]
	ds_read_u16 v9, v17 offset:3038
	ds_read_b32 v11, v17 offset:3036
	s_waitcnt lgkmcnt(7)
	v_lshrrev_b32_e32 v5, 16, v1
	s_waitcnt lgkmcnt(6)
	v_lshrrev_b32_e32 v10, 16, v8
	;; [unrolled: 2-line block ×6, first 2 shown]
.LBB0_21:
	s_or_b32 exec_lo, exec_lo, s1
	v_mul_lo_u16 v18, 0xf9, v18
	v_mov_b32_e32 v30, 6
	v_mov_b32_e32 v36, 0x39c
	;; [unrolled: 1-line block ×3, first 2 shown]
	s_waitcnt lgkmcnt(5)
	v_lshrrev_b32_e32 v38, 16, v28
	v_lshrrev_b16 v18, 13, v18
	s_waitcnt lgkmcnt(4)
	v_lshrrev_b32_e32 v39, 16, v27
	s_waitcnt lgkmcnt(1)
	v_lshrrev_b32_e32 v40, 16, v23
	s_waitcnt lgkmcnt(0)
	v_lshrrev_b32_e32 v41, 16, v26
	v_mul_lo_u16 v29, v18, 33
	v_mul_u32_u24_sdwa v18, v18, v36 dst_sel:DWORD dst_unused:UNUSED_PAD src0_sel:WORD_0 src1_sel:DWORD
	v_lshrrev_b32_e32 v36, 16, v25
	v_sub_nc_u16 v35, v0, v29
	v_mul_u32_u24_sdwa v29, v35, v30 dst_sel:DWORD dst_unused:UNUSED_PAD src0_sel:BYTE_0 src1_sel:DWORD
	v_lshlrev_b32_sdwa v35, v37, v35 dst_sel:DWORD dst_unused:UNUSED_PAD src0_sel:DWORD src1_sel:BYTE_0
	v_lshrrev_b32_e32 v37, 16, v24
	v_lshlrev_b32_e32 v33, 2, v29
	v_add3_u32 v18, 0, v18, v35
	s_clause 0x1
	global_load_dwordx4 v[29:32], v33, s[8:9] offset:120
	global_load_dwordx2 v[33:34], v33, s[8:9] offset:136
	s_waitcnt vmcnt(0)
	s_barrier
	buffer_gl0_inv
	v_mul_f16_sdwa v35, v29, v38 dst_sel:DWORD dst_unused:UNUSED_PAD src0_sel:WORD_1 src1_sel:DWORD
	v_mul_f16_sdwa v42, v29, v28 dst_sel:DWORD dst_unused:UNUSED_PAD src0_sel:WORD_1 src1_sel:DWORD
	;; [unrolled: 1-line block ×12, first 2 shown]
	v_fmac_f16_e32 v35, v29, v28
	v_fma_f16 v28, v29, v38, -v42
	v_fmac_f16_e32 v43, v30, v27
	v_fma_f16 v27, v30, v39, -v44
	v_fmac_f16_e32 v47, v32, v24
	v_fmac_f16_e32 v51, v34, v26
	v_fma_f16 v24, v34, v41, -v52
	v_fmac_f16_e32 v49, v33, v23
	v_fma_f16 v23, v33, v40, -v50
	;; [unrolled: 2-line block ×3, first 2 shown]
	v_fma_f16 v26, v32, v37, -v48
	v_add_f16_e32 v29, v35, v51
	v_add_f16_e32 v30, v28, v24
	v_sub_f16_e32 v24, v28, v24
	v_add_f16_e32 v28, v43, v49
	v_add_f16_e32 v32, v27, v23
	v_sub_f16_e32 v31, v35, v51
	v_sub_f16_e32 v33, v43, v49
	;; [unrolled: 1-line block ×3, first 2 shown]
	v_add_f16_e32 v27, v45, v47
	v_add_f16_e32 v34, v25, v26
	v_sub_f16_e32 v35, v47, v45
	v_sub_f16_e32 v25, v26, v25
	v_add_f16_e32 v26, v28, v29
	v_add_f16_e32 v36, v32, v30
	v_sub_f16_e32 v37, v28, v29
	v_sub_f16_e32 v38, v32, v30
	;; [unrolled: 1-line block ×6, first 2 shown]
	v_add_f16_e32 v39, v35, v33
	v_add_f16_e32 v40, v25, v23
	v_sub_f16_e32 v41, v35, v33
	v_sub_f16_e32 v42, v25, v23
	;; [unrolled: 1-line block ×3, first 2 shown]
	v_add_f16_e32 v26, v27, v26
	v_add_f16_e32 v27, v34, v36
	v_sub_f16_e32 v33, v33, v31
	v_sub_f16_e32 v35, v31, v35
	;; [unrolled: 1-line block ×3, first 2 shown]
	v_add_f16_e32 v31, v39, v31
	v_add_f16_e32 v24, v40, v24
	v_mul_f16_e32 v29, 0x3a52, v29
	v_mul_f16_e32 v30, 0x3a52, v30
	;; [unrolled: 1-line block ×7, first 2 shown]
	v_add_f16_e32 v43, v26, v22
	v_add_f16_sdwa v22, v27, v22 dst_sel:DWORD dst_unused:UNUSED_PAD src0_sel:DWORD src1_sel:WORD_1
	v_mul_f16_e32 v41, 0xbb00, v33
	v_fmamk_f16 v28, v28, 0x2b26, v29
	v_fmamk_f16 v32, v32, 0x2b26, v30
	v_fma_f16 v34, v37, 0x39e0, -v34
	v_fma_f16 v36, v38, 0x39e0, -v36
	;; [unrolled: 1-line block ×4, first 2 shown]
	v_fmamk_f16 v37, v35, 0xb574, v39
	v_fmamk_f16 v38, v25, 0xb574, v40
	v_fma_f16 v23, v23, 0xbb00, -v40
	v_fma_f16 v25, v25, 0x3574, -v42
	v_fmamk_f16 v26, v26, 0xbcab, v43
	v_fmamk_f16 v27, v27, 0xbcab, v22
	v_fma_f16 v33, v33, 0xbb00, -v39
	v_fma_f16 v35, v35, 0x3574, -v41
	v_fmac_f16_e32 v37, 0xb70e, v31
	v_fmac_f16_e32 v38, 0xb70e, v24
	;; [unrolled: 1-line block ×4, first 2 shown]
	v_add_f16_e32 v24, v28, v26
	v_add_f16_e32 v28, v32, v27
	v_fmac_f16_e32 v33, 0xb70e, v31
	v_fmac_f16_e32 v35, 0xb70e, v31
	v_add_f16_e32 v31, v34, v26
	v_add_f16_e32 v26, v29, v26
	;; [unrolled: 1-line block ×5, first 2 shown]
	v_sub_f16_e32 v32, v28, v37
	v_add_f16_e32 v34, v25, v26
	v_sub_f16_e32 v36, v29, v35
	v_sub_f16_e32 v39, v31, v23
	v_add_f16_e32 v40, v33, v27
	v_add_f16_e32 v23, v23, v31
	v_sub_f16_e32 v27, v27, v33
	v_sub_f16_e32 v25, v26, v25
	v_add_f16_e32 v26, v35, v29
	v_sub_f16_e32 v24, v24, v38
	v_add_f16_e32 v28, v37, v28
	v_pack_b32_f16 v22, v43, v22
	v_pack_b32_f16 v29, v30, v32
	;; [unrolled: 1-line block ×7, first 2 shown]
	ds_write2_b32 v18, v22, v29 offset1:33
	ds_write2_b32 v18, v30, v31 offset0:66 offset1:99
	ds_write2_b32 v18, v23, v25 offset0:132 offset1:165
	ds_write_b32 v18, v24 offset:792
	s_and_saveexec_b32 s1, s0
	s_cbranch_execz .LBB0_23
; %bb.22:
	v_mov_b32_e32 v18, 0xf83f
	v_mul_u32_u24_sdwa v18, v4, v18 dst_sel:DWORD dst_unused:UNUSED_PAD src0_sel:WORD_0 src1_sel:DWORD
	v_lshrrev_b32_e32 v18, 21, v18
	v_mul_lo_u16 v18, v18, 33
	v_sub_nc_u16 v18, v4, v18
	v_and_b32_e32 v18, 0xffff, v18
	v_mul_u32_u24_e32 v22, 6, v18
	v_lshl_add_u32 v18, v18, 2, 0
	v_lshlrev_b32_e32 v26, 2, v22
	v_add_nc_u32_e32 v28, 0x1800, v18
	s_clause 0x1
	global_load_dwordx4 v[22:25], v26, s[8:9] offset:120
	global_load_dwordx2 v[26:27], v26, s[8:9] offset:136
	s_waitcnt vmcnt(1)
	v_mul_f16_sdwa v29, v14, v22 dst_sel:DWORD dst_unused:UNUSED_PAD src0_sel:DWORD src1_sel:WORD_1
	s_waitcnt vmcnt(0)
	v_mul_f16_sdwa v30, v21, v27 dst_sel:DWORD dst_unused:UNUSED_PAD src0_sel:DWORD src1_sel:WORD_1
	v_mul_f16_sdwa v31, v16, v25 dst_sel:DWORD dst_unused:UNUSED_PAD src0_sel:DWORD src1_sel:WORD_1
	;; [unrolled: 1-line block ×11, first 2 shown]
	v_fmac_f16_e32 v29, v13, v22
	v_fmac_f16_e32 v30, v20, v27
	;; [unrolled: 1-line block ×6, first 2 shown]
	v_fma_f16 v7, v21, v27, -v35
	v_fma_f16 v8, v14, v22, -v36
	;; [unrolled: 1-line block ×6, first 2 shown]
	v_add_f16_e32 v19, v8, v7
	v_add_f16_e32 v22, v29, v30
	;; [unrolled: 1-line block ×4, first 2 shown]
	v_sub_f16_e32 v14, v29, v30
	v_sub_f16_e32 v15, v31, v32
	;; [unrolled: 1-line block ×3, first 2 shown]
	v_add_f16_e32 v20, v10, v11
	v_add_f16_e32 v23, v32, v31
	v_sub_f16_e32 v7, v8, v7
	v_sub_f16_e32 v8, v11, v10
	;; [unrolled: 1-line block ×3, first 2 shown]
	v_add_f16_e32 v26, v21, v19
	v_add_f16_e32 v30, v24, v22
	v_sub_f16_e32 v10, v14, v15
	v_sub_f16_e32 v11, v15, v16
	v_add_f16_e32 v13, v15, v16
	v_sub_f16_e32 v15, v19, v20
	v_sub_f16_e32 v25, v20, v21
	;; [unrolled: 1-line block ×6, first 2 shown]
	v_add_f16_e32 v8, v8, v9
	v_sub_f16_e32 v16, v16, v14
	v_sub_f16_e32 v9, v9, v7
	v_add_f16_e32 v20, v20, v26
	v_add_f16_e32 v23, v23, v30
	v_sub_f16_e32 v19, v21, v19
	v_sub_f16_e32 v21, v24, v22
	v_mul_f16_e32 v11, 0x3846, v11
	v_add_f16_e32 v13, v13, v14
	v_mul_f16_e32 v14, 0x3a52, v15
	v_mul_f16_e32 v15, 0x2b26, v25
	;; [unrolled: 1-line block ×4, first 2 shown]
	v_add_f16_e32 v7, v8, v7
	v_mul_f16_e32 v8, 0xbb00, v16
	v_mul_f16_e32 v27, 0xbb00, v9
	v_add_f16_e32 v5, v5, v20
	v_add_f16_e32 v1, v1, v23
	v_mul_f16_e32 v24, 0x2b26, v29
	v_fmamk_f16 v30, v10, 0xb574, v11
	v_fmamk_f16 v25, v25, 0x2b26, v14
	;; [unrolled: 1-line block ×4, first 2 shown]
	v_fma_f16 v8, v10, 0x3574, -v8
	v_fma_f16 v10, v19, 0xb9e0, -v14
	;; [unrolled: 1-line block ×6, first 2 shown]
	v_fmamk_f16 v19, v20, 0xbcab, v5
	v_fmamk_f16 v20, v23, 0xbcab, v1
	v_fma_f16 v11, v16, 0xbb00, -v11
	v_fma_f16 v16, v21, 0x39e0, -v24
	v_fmac_f16_e32 v30, 0xb70e, v13
	v_fmac_f16_e32 v32, 0xb70e, v7
	v_fmac_f16_e32 v22, 0xb70e, v7
	v_fmac_f16_e32 v9, 0xb70e, v7
	v_pack_b32_f16 v1, v1, v5
	v_add_f16_e32 v5, v25, v19
	v_add_f16_e32 v7, v29, v20
	v_fmac_f16_e32 v8, 0xb70e, v13
	v_fmac_f16_e32 v11, 0xb70e, v13
	v_add_f16_e32 v10, v10, v19
	v_add_f16_e32 v13, v14, v20
	;; [unrolled: 1-line block ×5, first 2 shown]
	v_sub_f16_e32 v19, v7, v32
	v_sub_f16_e32 v5, v5, v30
	v_add_f16_e32 v7, v32, v7
	v_add_f16_e32 v20, v8, v10
	v_sub_f16_e32 v21, v14, v11
	v_add_f16_e32 v11, v11, v14
	v_sub_f16_e32 v8, v10, v8
	;; [unrolled: 2-line block ×4, first 2 shown]
	v_pack_b32_f16 v5, v7, v5
	v_pack_b32_f16 v7, v10, v8
	;; [unrolled: 1-line block ×6, first 2 shown]
	ds_write2_b32 v28, v1, v5 offset0:81 offset1:114
	ds_write2_b32 v28, v7, v8 offset0:147 offset1:180
	ds_write2_b32 v28, v9, v10 offset0:213 offset1:246
	ds_write_b32 v18, v11 offset:7260
.LBB0_23:
	s_or_b32 exec_lo, exec_lo, s1
	v_mul_u32_u24_e32 v1, 3, v0
	s_waitcnt lgkmcnt(0)
	s_barrier
	buffer_gl0_inv
	v_lshl_add_u32 v13, v6, 2, 0
	v_lshlrev_b32_e32 v1, 2, v1
	v_add_nc_u32_e32 v26, 0xa80, v17
	v_add_nc_u32_e32 v27, 0x1200, v17
	;; [unrolled: 1-line block ×4, first 2 shown]
	global_load_dwordx3 v[14:16], v1, s[8:9] offset:912
	ds_read_u16 v28, v17 offset:6470
	ds_read_b32 v29, v17 offset:6468
	ds_read_b32 v30, v17
	ds_read_b32 v31, v12
	;; [unrolled: 1-line block ×3, first 2 shown]
	ds_read2_b32 v[18:19], v26 offset0:21 offset1:252
	ds_read2_b32 v[20:21], v27 offset0:3 offset1:234
	v_mov_b32_e32 v1, 0
	v_add_nc_u32_e32 v33, 0xe40, v17
	s_waitcnt vmcnt(0) lgkmcnt(0)
	s_barrier
	buffer_gl0_inv
	v_mov_b32_e32 v5, v1
	v_lshlrev_b64 v[8:9], 2, v[0:1]
	v_mov_b32_e32 v7, v1
	s_add_u32 s1, s8, 0x1cd4
	s_addc_u32 s4, s9, 0
	v_lshlrev_b64 v[10:11], 2, v[4:5]
	s_mov_b32 s5, exec_lo
	v_lshlrev_b64 v[4:5], 2, v[6:7]
	v_add_co_u32 v1, s0, s8, v8
	v_add_co_ci_u32_e64 v23, s0, s9, v9, s0
	v_lshrrev_b32_e32 v39, 16, v35
	v_lshrrev_b32_e32 v40, 16, v19
	;; [unrolled: 1-line block ×3, first 2 shown]
	v_add_co_u32 v36, s0, s8, v10
	v_lshrrev_b32_e32 v42, 16, v18
	v_lshrrev_b32_e32 v43, 16, v20
	v_add_co_ci_u32_e64 v37, s0, s9, v11, s0
	v_add_co_u32 v24, s0, s8, v4
	v_add_co_ci_u32_e64 v25, s0, s9, v5, s0
	v_add_co_u32 v6, s0, 0x800, v1
	;; [unrolled: 2-line block ×3, first 2 shown]
	v_lshrrev_b32_e32 v1, 16, v30
	v_lshrrev_b32_e32 v38, 16, v31
	v_add_co_ci_u32_e64 v23, s0, 0, v23, s0
	v_add_co_u32 v24, s0, 0x800, v24
	v_add_co_ci_u32_e64 v25, s0, 0, v25, s0
	v_mul_f16_sdwa v44, v14, v39 dst_sel:DWORD dst_unused:UNUSED_PAD src0_sel:WORD_1 src1_sel:DWORD
	v_mul_f16_sdwa v45, v14, v35 dst_sel:DWORD dst_unused:UNUSED_PAD src0_sel:WORD_1 src1_sel:DWORD
	;; [unrolled: 1-line block ×10, first 2 shown]
	v_mul_f16_sdwa v54, v28, v16 dst_sel:DWORD dst_unused:UNUSED_PAD src0_sel:DWORD src1_sel:WORD_1
	v_mul_f16_sdwa v55, v16, v29 dst_sel:DWORD dst_unused:UNUSED_PAD src0_sel:WORD_1 src1_sel:DWORD
	v_fmac_f16_e32 v44, v14, v35
	v_fma_f16 v35, v14, v39, -v45
	v_fmac_f16_e32 v46, v15, v19
	v_fma_f16 v19, v15, v40, -v47
	;; [unrolled: 2-line block ×6, first 2 shown]
	v_sub_f16_e32 v18, v30, v46
	v_sub_f16_e32 v19, v1, v19
	;; [unrolled: 1-line block ×8, first 2 shown]
	v_fma_f16 v30, v30, 2.0, -v18
	v_fma_f16 v1, v1, 2.0, -v19
	;; [unrolled: 1-line block ×8, first 2 shown]
	v_add_f16_e32 v21, v18, v21
	v_sub_f16_e32 v20, v19, v20
	v_sub_f16_e32 v39, v30, v39
	;; [unrolled: 1-line block ×3, first 2 shown]
	v_add_f16_e32 v16, v28, v16
	v_sub_f16_e32 v29, v15, v29
	v_sub_f16_e32 v40, v31, v40
	;; [unrolled: 1-line block ×3, first 2 shown]
	v_fma_f16 v18, v18, 2.0, -v21
	v_fma_f16 v19, v19, 2.0, -v20
	v_pack_b32_f16 v20, v21, v20
	v_fma_f16 v21, v30, 2.0, -v39
	v_fma_f16 v1, v1, 2.0, -v35
	;; [unrolled: 1-line block ×4, first 2 shown]
	v_pack_b32_f16 v16, v16, v29
	v_fma_f16 v29, v31, 2.0, -v40
	v_fma_f16 v30, v38, 2.0, -v14
	v_pack_b32_f16 v18, v18, v19
	v_pack_b32_f16 v19, v39, v35
	;; [unrolled: 1-line block ×3, first 2 shown]
	v_add_co_u32 v14, s0, 0x800, v36
	v_pack_b32_f16 v1, v21, v1
	v_pack_b32_f16 v28, v28, v15
	;; [unrolled: 1-line block ×3, first 2 shown]
	v_add_co_ci_u32_e64 v15, s0, 0, v37, s0
	ds_write2_b32 v32, v19, v20 offset0:14 offset1:245
	ds_write2_b32 v34, v31, v16 offset0:10 offset1:241
	ds_write2_b32 v17, v1, v18 offset1:231
	ds_write2_b32 v33, v21, v28 offset0:12 offset1:243
	s_waitcnt lgkmcnt(0)
	s_barrier
	buffer_gl0_inv
	s_clause 0x3
	global_load_dword v1, v[6:7], off offset:1636
	global_load_dword v16, v[22:23], off offset:312
	global_load_dword v18, v[24:25], off offset:1636
	global_load_dword v19, v[14:15], off offset:1636
	ds_read2_b32 v[6:7], v26 offset0:21 offset1:252
	ds_read_b32 v20, v17 offset:6468
	ds_read2_b32 v[14:15], v27 offset0:3 offset1:234
	ds_read_b32 v21, v17
	ds_read_b32 v22, v12
	;; [unrolled: 1-line block ×3, first 2 shown]
	s_waitcnt vmcnt(0) lgkmcnt(0)
	s_barrier
	buffer_gl0_inv
	v_pk_mul_f16 v23, v1, v7 op_sel:[0,1]
	v_pk_mul_f16 v25, v16, v20 op_sel:[0,1]
	;; [unrolled: 1-line block ×4, first 2 shown]
	v_pk_fma_f16 v28, v1, v7, v23 op_sel:[0,0,1] op_sel_hi:[1,1,0]
	v_pk_fma_f16 v1, v1, v7, v23 op_sel:[0,0,1] op_sel_hi:[1,0,0] neg_lo:[1,0,0] neg_hi:[1,0,0]
	v_pk_fma_f16 v7, v16, v20, v25 op_sel:[0,0,1] op_sel_hi:[1,1,0]
	v_pk_fma_f16 v16, v16, v20, v25 op_sel:[0,0,1] op_sel_hi:[1,0,0] neg_lo:[1,0,0] neg_hi:[1,0,0]
	;; [unrolled: 2-line block ×4, first 2 shown]
	v_bfi_b32 v1, 0xffff, v28, v1
	v_bfi_b32 v7, 0xffff, v7, v16
	;; [unrolled: 1-line block ×4, first 2 shown]
	v_pk_add_f16 v1, v21, v1 neg_lo:[0,1] neg_hi:[0,1]
	v_pk_add_f16 v7, v6, v7 neg_lo:[0,1] neg_hi:[0,1]
	;; [unrolled: 1-line block ×4, first 2 shown]
	v_pk_fma_f16 v16, v21, 2.0, v1 op_sel_hi:[1,0,1] neg_lo:[0,0,1] neg_hi:[0,0,1]
	v_pk_fma_f16 v6, v6, 2.0, v7 op_sel_hi:[1,0,1] neg_lo:[0,0,1] neg_hi:[0,0,1]
	;; [unrolled: 1-line block ×4, first 2 shown]
	ds_write_b32 v17, v1 offset:3696
	ds_write_b32 v17, v16
	ds_write_b32 v12, v18
	ds_write_b32 v12, v14 offset:3696
	ds_write_b32 v13, v19
	ds_write_b32 v13, v15 offset:3696
	ds_write_b32 v17, v6 offset:2772
	;; [unrolled: 1-line block ×3, first 2 shown]
	s_waitcnt lgkmcnt(0)
	s_barrier
	buffer_gl0_inv
	ds_read_b32 v15, v17
	v_lshlrev_b32_e32 v1, 2, v0
                                        ; implicit-def: $vgpr14
                                        ; implicit-def: $vgpr6
                                        ; implicit-def: $vgpr7
	v_sub_nc_u32_e32 v1, 0, v1
	v_cmpx_ne_u32_e32 0, v0
	s_xor_b32 s5, exec_lo, s5
	s_cbranch_execz .LBB0_25
; %bb.24:
	v_add_co_u32 v6, s0, s1, v8
	v_add_co_ci_u32_e64 v7, s0, s4, v9, s0
	global_load_dword v6, v[6:7], off
	ds_read_b32 v7, v1 offset:7392
	s_waitcnt lgkmcnt(0)
	v_pk_add_f16 v14, v15, v7 neg_lo:[0,1] neg_hi:[0,1]
	v_pk_add_f16 v7, v7, v15
	v_bfi_b32 v15, 0xffff, v14, v7
	v_bfi_b32 v7, 0xffff, v7, v14
	v_pk_mul_f16 v15, v15, 0.5 op_sel_hi:[1,0]
	v_pk_mul_f16 v16, v7, 0.5 op_sel_hi:[1,0]
	s_waitcnt vmcnt(0)
	v_pk_mul_f16 v14, v6, v15 op_sel:[1,0]
	v_pk_mul_f16 v15, v6, v15 op_sel_hi:[0,1]
	v_pk_fma_f16 v6, v7, 0.5, v14 op_sel_hi:[1,0,1]
	v_sub_f16_e32 v7, v16, v14
	v_sub_f16_sdwa v16, v14, v16 dst_sel:DWORD dst_unused:UNUSED_PAD src0_sel:WORD_1 src1_sel:WORD_1
	v_pk_add_f16 v18, v6, v15 op_sel:[0,1] op_sel_hi:[1,0]
	v_pk_add_f16 v19, v6, v15 op_sel:[0,1] op_sel_hi:[1,0] neg_lo:[0,1] neg_hi:[0,1]
	v_sub_f16_sdwa v6, v7, v15 dst_sel:DWORD dst_unused:UNUSED_PAD src0_sel:DWORD src1_sel:WORD_1
	v_sub_f16_e32 v7, v16, v15
                                        ; implicit-def: $vgpr15
	v_bfi_b32 v14, 0xffff, v18, v19
.LBB0_25:
	s_andn2_saveexec_b32 s0, s5
	s_cbranch_execz .LBB0_27
; %bb.26:
	v_mov_b32_e32 v7, 0
	s_waitcnt lgkmcnt(0)
	v_alignbit_b32 v6, s0, v15, 16
	ds_read_u16 v14, v7 offset:3698
	v_pk_add_f16 v16, v6, v15
	v_sub_f16_sdwa v6, v15, v15 dst_sel:DWORD dst_unused:UNUSED_PAD src0_sel:DWORD src1_sel:WORD_1
	s_waitcnt lgkmcnt(0)
	v_xor_b32_e32 v15, 0x8000, v14
	v_pack_b32_f16 v14, v16, 0
	ds_write_b16 v7, v15 offset:3698
.LBB0_27:
	s_or_b32 exec_lo, exec_lo, s0
	v_add_co_u32 v10, s0, s1, v10
	v_add_co_ci_u32_e64 v11, s0, s4, v11, s0
	v_add_co_u32 v4, s0, s1, v4
	v_add_co_ci_u32_e64 v5, s0, s4, v5, s0
	s_clause 0x1
	global_load_dword v10, v[10:11], off
	global_load_dword v11, v[4:5], off
	v_add_nc_u32_e32 v4, 0x2b5, v0
	v_mov_b32_e32 v5, 0
	v_lshlrev_b64 v[4:5], 2, v[4:5]
	v_add_co_u32 v4, s0, s1, v4
	v_add_co_ci_u32_e64 v5, s0, s4, v5, s0
	global_load_dword v4, v[4:5], off
	ds_write_b16 v1, v7 offset:7394
	ds_write_b32 v17, v14
	ds_write_b16 v1, v6 offset:7392
	ds_read_b32 v5, v12
	ds_read_b32 v6, v1 offset:6468
	s_waitcnt lgkmcnt(0)
	v_pk_add_f16 v7, v5, v6 neg_lo:[0,1] neg_hi:[0,1]
	v_pk_add_f16 v5, v5, v6
	v_bfi_b32 v6, 0xffff, v7, v5
	v_bfi_b32 v5, 0xffff, v5, v7
	v_pk_mul_f16 v6, v6, 0.5 op_sel_hi:[1,0]
	v_pk_mul_f16 v5, v5, 0.5 op_sel_hi:[1,0]
	s_waitcnt vmcnt(2)
	v_pk_fma_f16 v7, v10, v6, v5 op_sel:[1,0,0]
	v_pk_mul_f16 v14, v10, v6 op_sel_hi:[0,1]
	v_pk_fma_f16 v15, v10, v6, v5 op_sel:[1,0,0] neg_lo:[1,0,0] neg_hi:[1,0,0]
	v_pk_fma_f16 v5, v10, v6, v5 op_sel:[1,0,0] neg_lo:[0,0,1] neg_hi:[0,0,1]
	v_pk_add_f16 v6, v7, v14 op_sel:[0,1] op_sel_hi:[1,0]
	v_pk_add_f16 v7, v7, v14 op_sel:[0,1] op_sel_hi:[1,0] neg_lo:[0,1] neg_hi:[0,1]
	v_pk_add_f16 v10, v15, v14 op_sel:[0,1] op_sel_hi:[1,0] neg_lo:[0,1] neg_hi:[0,1]
	;; [unrolled: 1-line block ×3, first 2 shown]
	v_bfi_b32 v6, 0xffff, v6, v7
	v_bfi_b32 v5, 0xffff, v10, v5
	ds_write_b32 v12, v6
	ds_write_b32 v1, v5 offset:6468
	ds_read_b32 v5, v13
	ds_read_b32 v6, v1 offset:5544
	s_waitcnt lgkmcnt(0)
	v_pk_add_f16 v7, v5, v6 neg_lo:[0,1] neg_hi:[0,1]
	v_pk_add_f16 v5, v5, v6
	v_bfi_b32 v6, 0xffff, v7, v5
	v_bfi_b32 v5, 0xffff, v5, v7
	v_pk_mul_f16 v6, v6, 0.5 op_sel_hi:[1,0]
	v_pk_mul_f16 v5, v5, 0.5 op_sel_hi:[1,0]
	s_waitcnt vmcnt(1)
	v_pk_mul_f16 v10, v11, v6 op_sel_hi:[0,1]
	v_pk_fma_f16 v7, v11, v6, v5 op_sel:[1,0,0]
	v_pk_fma_f16 v12, v11, v6, v5 op_sel:[1,0,0] neg_lo:[1,0,0] neg_hi:[1,0,0]
	v_pk_fma_f16 v5, v11, v6, v5 op_sel:[1,0,0] neg_lo:[0,0,1] neg_hi:[0,0,1]
	v_pk_add_f16 v6, v7, v10 op_sel:[0,1] op_sel_hi:[1,0]
	v_pk_add_f16 v7, v7, v10 op_sel:[0,1] op_sel_hi:[1,0] neg_lo:[0,1] neg_hi:[0,1]
	v_pk_add_f16 v11, v12, v10 op_sel:[0,1] op_sel_hi:[1,0] neg_lo:[0,1] neg_hi:[0,1]
	;; [unrolled: 1-line block ×3, first 2 shown]
	v_bfi_b32 v6, 0xffff, v6, v7
	v_bfi_b32 v5, 0xffff, v11, v5
	ds_write_b32 v13, v6
	ds_write_b32 v1, v5 offset:5544
	ds_read_b32 v5, v17 offset:2772
	ds_read_b32 v6, v1 offset:4620
	s_waitcnt lgkmcnt(0)
	v_pk_add_f16 v7, v5, v6 neg_lo:[0,1] neg_hi:[0,1]
	v_pk_add_f16 v5, v5, v6
	v_bfi_b32 v6, 0xffff, v7, v5
	v_bfi_b32 v5, 0xffff, v5, v7
	v_pk_mul_f16 v6, v6, 0.5 op_sel_hi:[1,0]
	v_pk_mul_f16 v5, v5, 0.5 op_sel_hi:[1,0]
	s_waitcnt vmcnt(0)
	v_pk_mul_f16 v10, v4, v6 op_sel_hi:[0,1]
	v_pk_fma_f16 v7, v4, v6, v5 op_sel:[1,0,0]
	v_pk_fma_f16 v11, v4, v6, v5 op_sel:[1,0,0] neg_lo:[1,0,0] neg_hi:[1,0,0]
	v_pk_fma_f16 v4, v4, v6, v5 op_sel:[1,0,0] neg_lo:[0,0,1] neg_hi:[0,0,1]
	v_pk_add_f16 v5, v7, v10 op_sel:[0,1] op_sel_hi:[1,0]
	v_pk_add_f16 v6, v7, v10 op_sel:[0,1] op_sel_hi:[1,0] neg_lo:[0,1] neg_hi:[0,1]
	v_pk_add_f16 v7, v11, v10 op_sel:[0,1] op_sel_hi:[1,0] neg_lo:[0,1] neg_hi:[0,1]
	;; [unrolled: 1-line block ×3, first 2 shown]
	v_bfi_b32 v5, 0xffff, v5, v6
	v_bfi_b32 v4, 0xffff, v7, v4
	ds_write_b32 v17, v5 offset:2772
	ds_write_b32 v1, v4 offset:4620
	s_waitcnt lgkmcnt(0)
	s_barrier
	buffer_gl0_inv
	s_and_saveexec_b32 s0, vcc_lo
	s_cbranch_execz .LBB0_30
; %bb.28:
	v_add_nc_u32_e32 v1, 0x700, v17
	v_add_nc_u32_e32 v12, 0x1580, v17
	ds_read2_b32 v[4:5], v17 offset1:231
	ds_read2_b32 v[6:7], v1 offset0:14 offset1:245
	v_add_co_u32 v1, vcc_lo, s2, v2
	v_add_co_ci_u32_e32 v2, vcc_lo, s3, v3, vcc_lo
	v_add_nc_u32_e32 v3, 0xe40, v17
	v_add_co_u32 v8, vcc_lo, v1, v8
	ds_read2_b32 v[10:11], v3 offset0:12 offset1:243
	ds_read2_b32 v[12:13], v12 offset0:10 offset1:241
	v_add_co_ci_u32_e32 v9, vcc_lo, v2, v9, vcc_lo
	v_add_co_u32 v14, vcc_lo, 0x800, v8
	v_add_co_ci_u32_e32 v15, vcc_lo, 0, v9, vcc_lo
	v_add_co_u32 v3, vcc_lo, 0x1000, v8
	s_waitcnt lgkmcnt(3)
	global_store_dword v[8:9], v4, off
	global_store_dword v[8:9], v5, off offset:924
	s_waitcnt lgkmcnt(2)
	global_store_dword v[8:9], v6, off offset:1848
	global_store_dword v[14:15], v7, off offset:724
	v_add_co_ci_u32_e32 v4, vcc_lo, 0, v9, vcc_lo
	v_add_co_u32 v5, vcc_lo, 0x1800, v8
	v_add_co_ci_u32_e32 v6, vcc_lo, 0, v9, vcc_lo
	v_cmp_eq_u32_e32 vcc_lo, 0xe6, v0
	s_waitcnt lgkmcnt(1)
	global_store_dword v[14:15], v10, off offset:1648
	global_store_dword v[3:4], v11, off offset:524
	s_waitcnt lgkmcnt(0)
	global_store_dword v[3:4], v12, off offset:1448
	global_store_dword v[5:6], v13, off offset:324
	s_and_b32 exec_lo, exec_lo, vcc_lo
	s_cbranch_execz .LBB0_30
; %bb.29:
	v_mov_b32_e32 v0, 0
	ds_read_b32 v3, v0 offset:7392
	v_add_co_u32 v0, vcc_lo, 0x1800, v1
	v_add_co_ci_u32_e32 v1, vcc_lo, 0, v2, vcc_lo
	s_waitcnt lgkmcnt(0)
	global_store_dword v[0:1], v3, off offset:1248
.LBB0_30:
	s_endpgm
	.section	.rodata,"a",@progbits
	.p2align	6, 0x0
	.amdhsa_kernel fft_rtc_back_len1848_factors_3_11_7_4_2_wgs_231_tpt_231_halfLds_half_ip_CI_unitstride_sbrr_R2C_dirReg
		.amdhsa_group_segment_fixed_size 0
		.amdhsa_private_segment_fixed_size 0
		.amdhsa_kernarg_size 88
		.amdhsa_user_sgpr_count 6
		.amdhsa_user_sgpr_private_segment_buffer 1
		.amdhsa_user_sgpr_dispatch_ptr 0
		.amdhsa_user_sgpr_queue_ptr 0
		.amdhsa_user_sgpr_kernarg_segment_ptr 1
		.amdhsa_user_sgpr_dispatch_id 0
		.amdhsa_user_sgpr_flat_scratch_init 0
		.amdhsa_user_sgpr_private_segment_size 0
		.amdhsa_wavefront_size32 1
		.amdhsa_uses_dynamic_stack 0
		.amdhsa_system_sgpr_private_segment_wavefront_offset 0
		.amdhsa_system_sgpr_workgroup_id_x 1
		.amdhsa_system_sgpr_workgroup_id_y 0
		.amdhsa_system_sgpr_workgroup_id_z 0
		.amdhsa_system_sgpr_workgroup_info 0
		.amdhsa_system_vgpr_workitem_id 0
		.amdhsa_next_free_vgpr 112
		.amdhsa_next_free_sgpr 21
		.amdhsa_reserve_vcc 1
		.amdhsa_reserve_flat_scratch 0
		.amdhsa_float_round_mode_32 0
		.amdhsa_float_round_mode_16_64 0
		.amdhsa_float_denorm_mode_32 3
		.amdhsa_float_denorm_mode_16_64 3
		.amdhsa_dx10_clamp 1
		.amdhsa_ieee_mode 1
		.amdhsa_fp16_overflow 0
		.amdhsa_workgroup_processor_mode 1
		.amdhsa_memory_ordered 1
		.amdhsa_forward_progress 0
		.amdhsa_shared_vgpr_count 0
		.amdhsa_exception_fp_ieee_invalid_op 0
		.amdhsa_exception_fp_denorm_src 0
		.amdhsa_exception_fp_ieee_div_zero 0
		.amdhsa_exception_fp_ieee_overflow 0
		.amdhsa_exception_fp_ieee_underflow 0
		.amdhsa_exception_fp_ieee_inexact 0
		.amdhsa_exception_int_div_zero 0
	.end_amdhsa_kernel
	.text
.Lfunc_end0:
	.size	fft_rtc_back_len1848_factors_3_11_7_4_2_wgs_231_tpt_231_halfLds_half_ip_CI_unitstride_sbrr_R2C_dirReg, .Lfunc_end0-fft_rtc_back_len1848_factors_3_11_7_4_2_wgs_231_tpt_231_halfLds_half_ip_CI_unitstride_sbrr_R2C_dirReg
                                        ; -- End function
	.section	.AMDGPU.csdata,"",@progbits
; Kernel info:
; codeLenInByte = 9196
; NumSgprs: 23
; NumVgprs: 112
; ScratchSize: 0
; MemoryBound: 0
; FloatMode: 240
; IeeeMode: 1
; LDSByteSize: 0 bytes/workgroup (compile time only)
; SGPRBlocks: 2
; VGPRBlocks: 13
; NumSGPRsForWavesPerEU: 23
; NumVGPRsForWavesPerEU: 112
; Occupancy: 9
; WaveLimiterHint : 1
; COMPUTE_PGM_RSRC2:SCRATCH_EN: 0
; COMPUTE_PGM_RSRC2:USER_SGPR: 6
; COMPUTE_PGM_RSRC2:TRAP_HANDLER: 0
; COMPUTE_PGM_RSRC2:TGID_X_EN: 1
; COMPUTE_PGM_RSRC2:TGID_Y_EN: 0
; COMPUTE_PGM_RSRC2:TGID_Z_EN: 0
; COMPUTE_PGM_RSRC2:TIDIG_COMP_CNT: 0
	.text
	.p2alignl 6, 3214868480
	.fill 48, 4, 3214868480
	.type	__hip_cuid_65a7cde69d5a7479,@object ; @__hip_cuid_65a7cde69d5a7479
	.section	.bss,"aw",@nobits
	.globl	__hip_cuid_65a7cde69d5a7479
__hip_cuid_65a7cde69d5a7479:
	.byte	0                               ; 0x0
	.size	__hip_cuid_65a7cde69d5a7479, 1

	.ident	"AMD clang version 19.0.0git (https://github.com/RadeonOpenCompute/llvm-project roc-6.4.0 25133 c7fe45cf4b819c5991fe208aaa96edf142730f1d)"
	.section	".note.GNU-stack","",@progbits
	.addrsig
	.addrsig_sym __hip_cuid_65a7cde69d5a7479
	.amdgpu_metadata
---
amdhsa.kernels:
  - .args:
      - .actual_access:  read_only
        .address_space:  global
        .offset:         0
        .size:           8
        .value_kind:     global_buffer
      - .offset:         8
        .size:           8
        .value_kind:     by_value
      - .actual_access:  read_only
        .address_space:  global
        .offset:         16
        .size:           8
        .value_kind:     global_buffer
      - .actual_access:  read_only
        .address_space:  global
        .offset:         24
        .size:           8
        .value_kind:     global_buffer
      - .offset:         32
        .size:           8
        .value_kind:     by_value
      - .actual_access:  read_only
        .address_space:  global
        .offset:         40
        .size:           8
        .value_kind:     global_buffer
      - .actual_access:  read_only
        .address_space:  global
        .offset:         48
        .size:           8
        .value_kind:     global_buffer
      - .offset:         56
        .size:           4
        .value_kind:     by_value
      - .actual_access:  read_only
        .address_space:  global
        .offset:         64
        .size:           8
        .value_kind:     global_buffer
      - .actual_access:  read_only
        .address_space:  global
        .offset:         72
        .size:           8
        .value_kind:     global_buffer
      - .address_space:  global
        .offset:         80
        .size:           8
        .value_kind:     global_buffer
    .group_segment_fixed_size: 0
    .kernarg_segment_align: 8
    .kernarg_segment_size: 88
    .language:       OpenCL C
    .language_version:
      - 2
      - 0
    .max_flat_workgroup_size: 231
    .name:           fft_rtc_back_len1848_factors_3_11_7_4_2_wgs_231_tpt_231_halfLds_half_ip_CI_unitstride_sbrr_R2C_dirReg
    .private_segment_fixed_size: 0
    .sgpr_count:     23
    .sgpr_spill_count: 0
    .symbol:         fft_rtc_back_len1848_factors_3_11_7_4_2_wgs_231_tpt_231_halfLds_half_ip_CI_unitstride_sbrr_R2C_dirReg.kd
    .uniform_work_group_size: 1
    .uses_dynamic_stack: false
    .vgpr_count:     112
    .vgpr_spill_count: 0
    .wavefront_size: 32
    .workgroup_processor_mode: 1
amdhsa.target:   amdgcn-amd-amdhsa--gfx1030
amdhsa.version:
  - 1
  - 2
...

	.end_amdgpu_metadata
